;; amdgpu-corpus repo=ROCm/rocFFT kind=compiled arch=gfx906 opt=O3
	.text
	.amdgcn_target "amdgcn-amd-amdhsa--gfx906"
	.amdhsa_code_object_version 6
	.protected	fft_rtc_fwd_len343_factors_7_7_7_wgs_245_tpt_49_half_op_CI_CI_sbrc_unaligned_dirReg ; -- Begin function fft_rtc_fwd_len343_factors_7_7_7_wgs_245_tpt_49_half_op_CI_CI_sbrc_unaligned_dirReg
	.globl	fft_rtc_fwd_len343_factors_7_7_7_wgs_245_tpt_49_half_op_CI_CI_sbrc_unaligned_dirReg
	.p2align	8
	.type	fft_rtc_fwd_len343_factors_7_7_7_wgs_245_tpt_49_half_op_CI_CI_sbrc_unaligned_dirReg,@function
fft_rtc_fwd_len343_factors_7_7_7_wgs_245_tpt_49_half_op_CI_CI_sbrc_unaligned_dirReg: ; @fft_rtc_fwd_len343_factors_7_7_7_wgs_245_tpt_49_half_op_CI_CI_sbrc_unaligned_dirReg
; %bb.0:
	s_load_dwordx8 s[8:15], s[4:5], 0x0
	s_mov_b32 s30, 0
	s_mov_b64 s[34:35], 2
	s_mov_b32 s40, s30
	s_waitcnt lgkmcnt(0)
	s_load_dword s33, s[12:13], 0x8
	s_load_dwordx4 s[20:23], s[4:5], 0x58
	s_load_dwordx2 s[28:29], s[4:5], 0x20
	s_load_dwordx4 s[24:27], s[14:15], 0x0
	s_waitcnt lgkmcnt(0)
	s_add_i32 s0, s33, -1
	s_mul_hi_u32 s0, s0, 0xcccccccd
	s_lshr_b32 s0, s0, 2
	s_add_i32 s7, s0, 1
	v_cvt_f32_u32_e32 v1, s7
	s_sub_i32 s2, 0, s7
	s_load_dwordx4 s[16:19], s[28:29], 0x0
	v_cmp_gt_u64_e64 s[0:1], s[10:11], 2
	v_rcp_iflag_f32_e32 v1, v1
	v_mul_f32_e32 v1, 0x4f7ffffe, v1
	v_cvt_u32_f32_e32 v1, v1
	v_readfirstlane_b32 s3, v1
	s_mul_i32 s2, s2, s3
	s_mul_hi_u32 s2, s3, s2
	s_add_i32 s3, s3, s2
	s_mul_hi_u32 s2, s6, s3
	s_mul_i32 s3, s2, s7
	s_sub_i32 s3, s6, s3
	s_add_i32 s4, s2, 1
	s_sub_i32 s5, s3, s7
	s_cmp_ge_u32 s3, s7
	s_cselect_b32 s2, s4, s2
	s_cselect_b32 s3, s5, s3
	s_add_i32 s4, s2, 1
	s_cmp_ge_u32 s3, s7
	s_cselect_b32 s27, s4, s2
	s_and_b64 vcc, exec, s[0:1]
	s_mul_i32 s0, s27, s7
	s_waitcnt lgkmcnt(0)
	s_sub_i32 s19, s6, s0
	s_mul_i32 s19, s19, 5
	s_mul_i32 s0, s17, s19
	s_mul_hi_u32 s1, s16, s19
	s_mul_i32 s41, s19, s26
	s_mul_i32 s2, s16, s19
	s_add_i32 s3, s1, s0
	s_cbranch_vccz .LBB0_9
; %bb.1:
	v_mov_b32_e32 v1, s10
	s_mov_b32 s4, 3
	v_mov_b32_e32 v2, s11
.LBB0_2:                                ; =>This Inner Loop Header: Depth=1
	s_lshl_b64 s[34:35], s[34:35], 3
	s_add_u32 s0, s12, s34
	s_addc_u32 s1, s13, s35
	s_load_dwordx2 s[36:37], s[0:1], 0x0
	s_waitcnt lgkmcnt(0)
	s_mov_b32 s31, s37
	s_cmp_lg_u64 s[30:31], 0
	s_cbranch_scc0 .LBB0_7
; %bb.3:                                ;   in Loop: Header=BB0_2 Depth=1
	v_cvt_f32_u32_e32 v3, s36
	v_cvt_f32_u32_e32 v4, s37
	s_sub_u32 s0, 0, s36
	s_subb_u32 s1, 0, s37
	v_mac_f32_e32 v3, 0x4f800000, v4
	v_rcp_f32_e32 v3, v3
	v_mul_f32_e32 v3, 0x5f7ffffc, v3
	v_mul_f32_e32 v4, 0x2f800000, v3
	v_trunc_f32_e32 v4, v4
	v_mac_f32_e32 v3, 0xcf800000, v4
	v_cvt_u32_f32_e32 v4, v4
	v_cvt_u32_f32_e32 v3, v3
	v_readfirstlane_b32 s5, v4
	v_readfirstlane_b32 s31, v3
	s_mul_i32 s38, s0, s5
	s_mul_hi_u32 s42, s0, s31
	s_mul_i32 s39, s1, s31
	s_add_i32 s38, s42, s38
	s_mul_i32 s43, s0, s31
	s_add_i32 s38, s38, s39
	s_mul_hi_u32 s39, s31, s38
	s_mul_i32 s42, s31, s38
	s_mul_hi_u32 s31, s31, s43
	s_add_u32 s31, s31, s42
	s_addc_u32 s39, 0, s39
	s_mul_hi_u32 s44, s5, s43
	s_mul_i32 s43, s5, s43
	s_add_u32 s31, s31, s43
	s_mul_hi_u32 s42, s5, s38
	s_addc_u32 s31, s39, s44
	s_addc_u32 s39, s42, 0
	s_mul_i32 s38, s5, s38
	s_add_u32 s31, s31, s38
	s_addc_u32 s38, 0, s39
	v_add_co_u32_e32 v3, vcc, s31, v3
	s_cmp_lg_u64 vcc, 0
	s_addc_u32 s5, s5, s38
	v_readfirstlane_b32 s38, v3
	s_mul_i32 s31, s0, s5
	s_mul_hi_u32 s39, s0, s38
	s_add_i32 s31, s39, s31
	s_mul_i32 s1, s1, s38
	s_add_i32 s31, s31, s1
	s_mul_i32 s0, s0, s38
	s_mul_hi_u32 s39, s5, s0
	s_mul_i32 s42, s5, s0
	s_mul_i32 s44, s38, s31
	s_mul_hi_u32 s0, s38, s0
	s_mul_hi_u32 s43, s38, s31
	s_add_u32 s0, s0, s44
	s_addc_u32 s38, 0, s43
	s_add_u32 s0, s0, s42
	s_mul_hi_u32 s1, s5, s31
	s_addc_u32 s0, s38, s39
	s_addc_u32 s1, s1, 0
	s_mul_i32 s31, s5, s31
	s_add_u32 s0, s0, s31
	s_addc_u32 s1, 0, s1
	v_add_co_u32_e32 v3, vcc, s0, v3
	s_cmp_lg_u64 vcc, 0
	s_addc_u32 s0, s5, s1
	v_readfirstlane_b32 s5, v3
	s_mul_hi_u32 s1, s27, s0
	s_mul_i32 s0, s27, s0
	s_mul_hi_u32 s5, s27, s5
	s_add_u32 s0, s5, s0
	s_addc_u32 s5, 0, s1
	s_mul_i32 s0, s37, s5
	s_mul_hi_u32 s1, s36, s5
	s_add_i32 s31, s1, s0
	s_mul_i32 s1, s36, s5
	v_mov_b32_e32 v3, s1
	s_sub_i32 s0, 0, s31
	v_sub_co_u32_e32 v3, vcc, s27, v3
	s_cmp_lg_u64 vcc, 0
	s_subb_u32 s38, s0, s37
	v_subrev_co_u32_e64 v4, s[0:1], s36, v3
	s_cmp_lg_u64 s[0:1], 0
	s_subb_u32 s0, s38, 0
	s_cmp_ge_u32 s0, s37
	v_readfirstlane_b32 s38, v4
	s_cselect_b32 s1, -1, 0
	s_cmp_ge_u32 s38, s36
	s_cselect_b32 s38, -1, 0
	s_cmp_eq_u32 s0, s37
	s_cselect_b32 s0, s38, s1
	s_add_u32 s1, s5, 1
	s_addc_u32 s38, 0, 0
	s_add_u32 s39, s5, 2
	s_addc_u32 s42, 0, 0
	s_cmp_lg_u32 s0, 0
	s_cselect_b32 s0, s39, s1
	s_cselect_b32 s1, s42, s38
	s_cmp_lg_u64 vcc, 0
	s_subb_u32 s31, 0, s31
	s_cmp_ge_u32 s31, s37
	v_readfirstlane_b32 s39, v3
	s_cselect_b32 s38, -1, 0
	s_cmp_ge_u32 s39, s36
	s_cselect_b32 s39, -1, 0
	s_cmp_eq_u32 s31, s37
	s_cselect_b32 s31, s39, s38
	s_cmp_lg_u32 s31, 0
	s_cselect_b32 s1, s1, 0
	s_cselect_b32 s0, s0, s5
	s_cbranch_execnz .LBB0_5
.LBB0_4:                                ;   in Loop: Header=BB0_2 Depth=1
	v_cvt_f32_u32_e32 v3, s36
	s_sub_i32 s0, 0, s36
	v_rcp_iflag_f32_e32 v3, v3
	v_mul_f32_e32 v3, 0x4f7ffffe, v3
	v_cvt_u32_f32_e32 v3, v3
	v_readfirstlane_b32 s1, v3
	s_mul_i32 s0, s0, s1
	s_mul_hi_u32 s0, s1, s0
	s_add_i32 s1, s1, s0
	s_mul_hi_u32 s0, s27, s1
	s_mul_i32 s5, s0, s36
	s_sub_i32 s5, s27, s5
	s_add_i32 s1, s0, 1
	s_sub_i32 s31, s5, s36
	s_cmp_ge_u32 s5, s36
	s_cselect_b32 s0, s1, s0
	s_cselect_b32 s5, s31, s5
	s_add_i32 s1, s0, 1
	s_cmp_ge_u32 s5, s36
	s_cselect_b32 s0, s1, s0
	s_mov_b32 s1, s30
.LBB0_5:                                ;   in Loop: Header=BB0_2 Depth=1
	s_mul_i32 s5, s0, s37
	s_mul_hi_u32 s31, s0, s36
	s_add_i32 s5, s31, s5
	s_mul_i32 s1, s1, s36
	s_add_i32 s5, s5, s1
	s_mul_i32 s1, s0, s36
	s_sub_u32 s1, s27, s1
	s_subb_u32 s5, 0, s5
	s_add_u32 s38, s14, s34
	s_addc_u32 s39, s15, s35
	s_load_dwordx2 s[38:39], s[38:39], 0x0
	s_mul_i32 s7, s7, s36
	s_waitcnt lgkmcnt(0)
	s_mul_i32 s27, s38, s5
	s_mul_hi_u32 s31, s38, s1
	s_add_i32 s27, s31, s27
	s_mul_i32 s31, s39, s1
	s_add_i32 s27, s27, s31
	s_mul_i32 s31, s38, s1
	s_add_u32 s41, s31, s41
	s_addc_u32 s40, s27, s40
	s_add_u32 s34, s28, s34
	s_addc_u32 s35, s29, s35
	s_load_dwordx2 s[34:35], s[34:35], 0x0
	s_waitcnt lgkmcnt(0)
	s_mul_i32 s5, s34, s5
	s_mul_hi_u32 s27, s34, s1
	s_add_i32 s5, s27, s5
	s_mul_i32 s27, s35, s1
	s_add_i32 s5, s5, s27
	s_mul_i32 s1, s34, s1
	s_add_u32 s2, s1, s2
	s_addc_u32 s3, s5, s3
	s_mov_b32 s5, s30
	v_cmp_ge_u64_e32 vcc, s[4:5], v[1:2]
	s_mov_b64 s[34:35], s[4:5]
	s_add_i32 s4, s4, 1
	s_cbranch_vccnz .LBB0_8
; %bb.6:                                ;   in Loop: Header=BB0_2 Depth=1
	s_mov_b32 s27, s0
	s_branch .LBB0_2
.LBB0_7:                                ;   in Loop: Header=BB0_2 Depth=1
                                        ; implicit-def: $sgpr0_sgpr1
	s_branch .LBB0_4
.LBB0_8:
	v_cvt_f32_u32_e32 v1, s7
	s_sub_i32 s0, 0, s7
	v_rcp_iflag_f32_e32 v1, v1
	v_mul_f32_e32 v1, 0x4f7ffffe, v1
	v_cvt_u32_f32_e32 v1, v1
	v_readfirstlane_b32 s1, v1
	s_mul_i32 s0, s0, s1
	s_mul_hi_u32 s0, s1, s0
	s_add_i32 s1, s1, s0
	s_mul_hi_u32 s0, s6, s1
	s_mul_i32 s1, s0, s7
	s_sub_i32 s1, s6, s1
	s_add_i32 s4, s0, 1
	s_sub_i32 s5, s1, s7
	s_cmp_ge_u32 s1, s7
	s_cselect_b32 s0, s4, s0
	s_cselect_b32 s1, s5, s1
	s_add_i32 s4, s0, 1
	s_cmp_ge_u32 s1, s7
	s_cselect_b32 s27, s4, s0
.LBB0_9:
	s_lshl_b64 s[0:1], s[10:11], 3
	s_add_u32 s4, s14, s0
	s_addc_u32 s5, s15, s1
	s_load_dwordx2 s[4:5], s[4:5], 0x0
	s_mov_b64 s[10:11], -1
	s_waitcnt lgkmcnt(0)
	s_mul_i32 s5, s5, s27
	s_mul_hi_u32 s6, s4, s27
	s_mul_i32 s4, s4, s27
	s_add_i32 s5, s6, s5
	s_add_u32 s6, s4, s41
	s_addc_u32 s7, s5, s40
	s_add_u32 s0, s28, s0
	s_addc_u32 s1, s29, s1
	s_load_dwordx2 s[0:1], s[0:1], 0x0
	s_add_i32 s4, s19, 5
	s_cmp_le_u32 s4, s33
	s_cselect_b64 s[4:5], -1, 0
	s_and_b64 vcc, exec, s[4:5]
	s_cbranch_vccnz .LBB0_13
; %bb.10:
	s_lshl_b64 s[10:11], s[6:7], 2
	s_add_u32 s12, s20, s10
	s_addc_u32 s14, s21, s11
	s_mov_b64 s[10:11], 0
	s_movk_i32 s13, 0x7e23
	v_mov_b32_e32 v2, 0
	v_mov_b32_e32 v3, s14
	s_movk_i32 s14, 0x6b2
	v_mov_b32_e32 v4, v0
.LBB0_11:                               ; =>This Inner Loop Header: Depth=1
	v_mul_u32_u24_sdwa v1, v4, s13 dst_sel:DWORD dst_unused:UNUSED_PAD src0_sel:WORD_0 src1_sel:DWORD
	v_sub_u16_sdwa v5, v4, v1 dst_sel:DWORD dst_unused:UNUSED_PAD src0_sel:DWORD src1_sel:WORD_1
	v_lshrrev_b16_e32 v5, 1, v5
	v_add_u16_sdwa v1, v5, v1 dst_sel:DWORD dst_unused:UNUSED_PAD src0_sel:DWORD src1_sel:WORD_1
	v_lshrrev_b16_e32 v11, 8, v1
	v_mul_lo_u16_e32 v5, 0x157, v11
	v_sub_u16_e32 v12, v4, v5
	v_mul_lo_u32 v1, s26, v11
	v_mad_u64_u32 v[5:6], s[28:29], s24, v12, 0
	v_add_u32_e32 v4, 0xf5, v4
	v_lshlrev_b64 v[7:8], 2, v[1:2]
	v_mov_b32_e32 v1, v6
	v_mad_u64_u32 v[9:10], s[28:29], s25, v12, v[1:2]
	v_mov_b32_e32 v6, v9
	v_lshlrev_b64 v[5:6], 2, v[5:6]
	v_add_co_u32_e32 v1, vcc, s12, v5
	v_addc_co_u32_e32 v6, vcc, v3, v6, vcc
	v_add_co_u32_e32 v5, vcc, v1, v7
	v_addc_co_u32_e32 v6, vcc, v6, v8, vcc
	global_load_dword v1, v[5:6], off
	v_mad_legacy_u16 v5, v12, 5, v11
	v_cmp_lt_u32_e32 vcc, s14, v4
	v_lshl_add_u32 v5, v5, 2, 0
	s_or_b64 s[10:11], vcc, s[10:11]
	s_waitcnt vmcnt(0)
	ds_write_b32 v5, v1
	s_andn2_b64 exec, exec, s[10:11]
	s_cbranch_execnz .LBB0_11
; %bb.12:
	s_or_b64 exec, exec, s[10:11]
	s_mov_b64 s[10:11], 0
.LBB0_13:
	s_and_b64 vcc, exec, s[10:11]
	s_cbranch_vccz .LBB0_15
; %bb.14:
	v_and_b32_e32 v3, 0xffff, v0
	v_mad_u64_u32 v[1:2], s[10:11], s24, v3, 0
	v_add_u16_e32 v7, 0x1ea, v0
	v_mul_u32_u24_e32 v8, 0x2fd, v7
	v_mad_u64_u32 v[2:3], s[10:11], s25, v3, v[2:3]
	v_add_u16_e32 v3, 0xf5, v0
	v_mul_u32_u24_e32 v4, 0x17f, v3
	v_lshrrev_b32_e32 v18, 17, v4
	v_mul_lo_u16_e32 v4, 0x157, v18
	v_sub_u16_e32 v19, v3, v4
	v_mad_u64_u32 v[3:4], s[10:11], s24, v19, 0
	v_lshrrev_b32_e32 v20, 18, v8
	s_lshl_b64 s[6:7], s[6:7], 2
	v_mad_u64_u32 v[4:5], s[10:11], s25, v19, v[4:5]
	v_mul_lo_u16_e32 v8, 0x157, v20
	s_add_u32 s6, s20, s6
	v_lshlrev_b64 v[1:2], 2, v[1:2]
	v_sub_u16_e32 v21, v7, v8
	s_addc_u32 s7, s21, s7
	v_mul_lo_u32 v5, s26, v18
	v_mad_u64_u32 v[7:8], s[10:11], s24, v21, 0
	v_mov_b32_e32 v6, s7
	v_add_co_u32_e32 v1, vcc, s6, v1
	v_lshlrev_b64 v[3:4], 2, v[3:4]
	v_addc_co_u32_e32 v2, vcc, v6, v2, vcc
	v_mov_b32_e32 v6, 0
	v_mov_b32_e32 v9, s7
	v_add_co_u32_e32 v10, vcc, s6, v3
	v_addc_co_u32_e32 v11, vcc, v9, v4, vcc
	v_lshlrev_b64 v[3:4], 2, v[5:6]
	v_mov_b32_e32 v5, v8
	v_mad_u64_u32 v[8:9], s[10:11], s25, v21, v[5:6]
	v_add_u16_e32 v9, 0x2df, v0
	v_add_co_u32_e32 v3, vcc, v10, v3
	v_mul_u32_u24_e32 v10, 0x2fd, v9
	v_lshrrev_b32_e32 v22, 18, v10
	v_mul_lo_u16_e32 v10, 0x157, v22
	v_sub_u16_e32 v23, v9, v10
	v_mul_lo_u32 v5, s26, v20
	v_mad_u64_u32 v[9:10], s[10:11], s24, v23, 0
	v_lshlrev_b64 v[7:8], 2, v[7:8]
	v_addc_co_u32_e32 v4, vcc, v11, v4, vcc
	v_mov_b32_e32 v11, s7
	v_add_co_u32_e32 v12, vcc, s6, v7
	v_addc_co_u32_e32 v13, vcc, v11, v8, vcc
	v_lshlrev_b64 v[7:8], 2, v[5:6]
	v_mov_b32_e32 v5, v10
	v_mad_u64_u32 v[10:11], s[10:11], s25, v23, v[5:6]
	v_add_u16_e32 v11, 0x3d4, v0
	v_add_co_u32_e32 v7, vcc, v12, v7
	v_mul_u32_u24_e32 v12, 0x5f9, v11
	v_lshrrev_b32_e32 v24, 19, v12
	v_mul_lo_u16_e32 v12, 0x157, v24
	v_sub_u16_e32 v25, v11, v12
	v_mul_lo_u32 v5, s26, v22
	v_mad_u64_u32 v[11:12], s[10:11], s24, v25, 0
	v_lshlrev_b64 v[9:10], 2, v[9:10]
	v_addc_co_u32_e32 v8, vcc, v13, v8, vcc
	v_mov_b32_e32 v13, s7
	v_add_co_u32_e32 v14, vcc, s6, v9
	v_addc_co_u32_e32 v15, vcc, v13, v10, vcc
	v_lshlrev_b64 v[9:10], 2, v[5:6]
	v_mov_b32_e32 v5, v12
	v_mad_u64_u32 v[12:13], s[10:11], s25, v25, v[5:6]
	v_mul_lo_u32 v5, s26, v24
	v_add_co_u32_e32 v9, vcc, v14, v9
	v_lshlrev_b64 v[11:12], 2, v[11:12]
	v_addc_co_u32_e32 v10, vcc, v15, v10, vcc
	v_mov_b32_e32 v13, s7
	v_add_co_u32_e32 v15, vcc, s6, v11
	v_addc_co_u32_e32 v16, vcc, v13, v12, vcc
	v_lshlrev_b64 v[11:12], 2, v[5:6]
	v_add_u16_e32 v5, 0x4c9, v0
	v_mul_u32_u24_e32 v13, 0x5f9, v5
	v_lshrrev_b32_e32 v26, 19, v13
	v_mul_lo_u16_e32 v13, 0x157, v26
	v_sub_u16_e32 v27, v5, v13
	v_mad_u64_u32 v[13:14], s[10:11], s24, v27, 0
	v_add_co_u32_e32 v11, vcc, v15, v11
	v_mov_b32_e32 v5, v14
	v_mad_u64_u32 v[14:15], s[10:11], s25, v27, v[5:6]
	v_mul_lo_u32 v5, s26, v26
	v_addc_co_u32_e32 v12, vcc, v16, v12, vcc
	v_lshlrev_b64 v[13:14], 2, v[13:14]
	v_mov_b32_e32 v15, s7
	v_add_co_u32_e32 v16, vcc, s6, v13
	v_addc_co_u32_e32 v15, vcc, v15, v14, vcc
	v_lshlrev_b64 v[13:14], 2, v[5:6]
	v_add_u16_e32 v5, 0x5be, v0
	v_add_co_u32_e32 v13, vcc, v16, v13
	v_addc_co_u32_e32 v14, vcc, v15, v14, vcc
	v_mul_u32_u24_e32 v15, 0x5f9, v5
	v_lshrrev_b32_e32 v28, 19, v15
	v_mul_lo_u16_e32 v15, 0x157, v28
	v_sub_u16_e32 v29, v5, v15
	v_mad_u64_u32 v[15:16], s[10:11], s24, v29, 0
	global_load_dword v3, v[3:4], off
	v_mov_b32_e32 v4, s7
	v_mov_b32_e32 v5, v16
	v_mad_u64_u32 v[16:17], s[10:11], s25, v29, v[5:6]
	global_load_dword v17, v[1:2], off
	v_mul_lo_u32 v5, s26, v28
	v_lshlrev_b64 v[1:2], 2, v[15:16]
	global_load_dword v15, v[7:8], off
	global_load_dword v16, v[9:10], off
	v_add_co_u32_e32 v7, vcc, s6, v1
	v_addc_co_u32_e32 v4, vcc, v4, v2, vcc
	v_lshlrev_b64 v[1:2], 2, v[5:6]
	global_load_dword v5, v[11:12], off
	global_load_dword v6, v[13:14], off
	v_add_co_u32_e32 v1, vcc, v7, v1
	v_addc_co_u32_e32 v2, vcc, v4, v2, vcc
	global_load_dword v1, v[1:2], off
	v_mul_lo_u16_e32 v2, 5, v0
	v_lshl_add_u32 v2, v2, 2, 0
	s_waitcnt vmcnt(5)
	ds_write_b32 v2, v17
	v_mad_legacy_u16 v2, v19, 5, v18
	v_lshl_add_u32 v2, v2, 2, 0
	ds_write_b32 v2, v3
	v_mad_legacy_u16 v2, v21, 5, v20
	v_lshl_add_u32 v2, v2, 2, 0
	s_waitcnt vmcnt(4)
	ds_write_b32 v2, v15
	v_mad_legacy_u16 v2, v23, 5, v22
	v_lshl_add_u32 v2, v2, 2, 0
	s_waitcnt vmcnt(3)
	;; [unrolled: 4-line block ×5, first 2 shown]
	ds_write_b32 v2, v1
.LBB0_15:
	s_movk_i32 s6, 0x3334
	v_mul_u32_u24_sdwa v1, v0, s6 dst_sel:DWORD dst_unused:UNUSED_PAD src0_sel:WORD_0 src1_sel:DWORD
	s_mov_b32 s6, 0x33333334
	v_mul_hi_u32 v5, v0, s6
	v_mov_b32_e32 v2, 5
	v_mul_lo_u16_sdwa v1, v1, v2 dst_sel:DWORD dst_unused:UNUSED_PAD src0_sel:WORD_1 src1_sel:DWORD
	v_sub_u16_e32 v1, v0, v1
	v_mul_u32_u24_e32 v2, 20, v5
	v_lshlrev_b32_e32 v18, 2, v1
	v_add3_u32 v2, 0, v2, v18
	v_add_u32_e32 v3, 0x780, v2
	v_add_u32_e32 v4, 0xf40, v2
	s_waitcnt lgkmcnt(0)
	s_barrier
	ds_read2_b32 v[6:7], v2 offset1:245
	ds_read2_b32 v[8:9], v3 offset0:10 offset1:255
	ds_read_b32 v12, v2 offset:5880
	ds_read2_b32 v[10:11], v4 offset0:4 offset1:249
	s_movk_i32 s6, 0x78
	v_mad_u32_u24 v13, v5, s6, v2
	s_movk_i32 s6, 0x3a52
	s_waitcnt lgkmcnt(1)
	v_pk_add_f16 v14, v7, v12
	v_pk_add_f16 v7, v7, v12 neg_lo:[0,1] neg_hi:[0,1]
	s_waitcnt lgkmcnt(0)
	v_pk_add_f16 v12, v8, v11
	v_pk_add_f16 v8, v8, v11 neg_lo:[0,1] neg_hi:[0,1]
	v_pk_add_f16 v11, v9, v10
	v_pk_add_f16 v9, v10, v9 neg_lo:[0,1] neg_hi:[0,1]
	;; [unrolled: 2-line block ×3, first 2 shown]
	v_pk_add_f16 v14, v14, v11 neg_lo:[0,1] neg_hi:[0,1]
	v_pk_add_f16 v16, v9, v8 op_sel:[1,1] op_sel_hi:[0,0]
	v_pk_add_f16 v19, v8, v7 op_sel:[1,1] op_sel_hi:[0,0] neg_lo:[0,1] neg_hi:[0,1]
	v_pk_add_f16 v10, v11, v10
	v_pk_mul_f16 v14, v14, s6 op_sel_hi:[1,0]
	s_movk_i32 s6, 0x39e0
	s_movk_i32 s7, 0x3b00
	v_pk_add_f16 v17, v7, v9 op_sel:[1,1] op_sel_hi:[0,0] neg_lo:[0,1] neg_hi:[0,1]
	v_pk_add_f16 v7, v16, v7 op_sel:[0,1] op_sel_hi:[1,0]
	v_pk_add_f16 v6, v10, v6
	v_pk_mul_f16 v16, v15, s6 op_sel_hi:[1,0]
	s_movk_i32 s11, 0x3574
	v_pk_mul_f16 v19, v19, s7 op_sel_hi:[1,0]
	s_mov_b32 s12, 0xbcab
	v_pk_add_f16 v11, v11, v12 neg_lo:[0,1] neg_hi:[0,1]
	v_pk_add_f16 v8, v9, v8 op_sel:[1,1] op_sel_hi:[0,0] neg_lo:[0,1] neg_hi:[0,1]
	s_movk_i32 s13, 0x2b26
	s_mov_b32 s15, 0xb846
	v_pk_mul_f16 v20, v17, s11 op_sel_hi:[1,0]
	v_pk_fma_f16 v10, v10, s12, v6 op_sel_hi:[1,0,1]
	v_pk_fma_f16 v15, v15, s6, v14 op_sel_hi:[1,0,1] neg_lo:[1,0,1] neg_hi:[1,0,1]
	v_pk_fma_f16 v17, v17, s11, v19 op_sel_hi:[1,0,1] neg_lo:[1,0,1] neg_hi:[1,0,1]
	s_movk_i32 s10, 0x370e
	v_pk_fma_f16 v9, v11, s13, v16 op_sel_hi:[1,0,1] neg_lo:[1,0,0] neg_hi:[1,0,0]
	v_pk_fma_f16 v12, v8, s15, v19 op_sel_hi:[1,0,1] neg_lo:[1,0,0] neg_hi:[1,0,0]
	v_pk_add_f16 v15, v15, v10
	v_pk_fma_f16 v17, v7, s10, v17 op_sel_hi:[1,0,1]
	v_pk_add_f16 v9, v9, v10
	v_pk_fma_f16 v12, v7, s10, v12 op_sel_hi:[1,0,1]
	s_mov_b32 s14, 0xffff
	v_pk_add_f16 v21, v15, v17
	v_pk_add_f16 v15, v15, v17 neg_lo:[0,1] neg_hi:[0,1]
	v_pk_add_f16 v16, v9, v12 neg_lo:[0,1] neg_hi:[0,1]
	v_pk_add_f16 v9, v9, v12
	v_bfi_b32 v17, s14, v21, v15
	v_bfi_b32 v12, s14, v16, v9
	s_barrier
	ds_write2_b32 v13, v17, v12 offset0:10 offset1:15
	v_bfi_b32 v9, s14, v9, v16
	v_bfi_b32 v12, s14, v15, v21
	ds_write2_b32 v13, v9, v12 offset0:20 offset1:25
	v_pk_fma_f16 v9, v11, s13, v14 op_sel_hi:[1,0,1]
	v_pk_fma_f16 v8, v8, s15, v20 op_sel_hi:[1,0,1]
	v_pk_add_f16 v9, v9, v10
	v_pk_fma_f16 v7, v7, s10, v8 op_sel_hi:[1,0,1]
	v_pk_add_f16 v8, v9, v7
	v_pk_add_f16 v7, v9, v7 neg_lo:[0,1] neg_hi:[0,1]
	v_bfi_b32 v9, s14, v7, v8
	v_bfi_b32 v7, s14, v8, v7
	s_mov_b32 s14, 0x24924925
	ds_write2_b32 v13, v6, v7 offset1:5
	ds_write_b32 v13, v9 offset:120
	v_mul_hi_u32 v6, v5, s14
	s_waitcnt lgkmcnt(0)
	s_barrier
	v_mul_u32_u24_e32 v6, 7, v6
	v_sub_u32_e32 v19, v5, v6
	v_mul_u32_u24_e32 v6, 6, v19
	v_lshlrev_b32_e32 v12, 2, v6
	global_load_dwordx4 v[6:9], v12, s[8:9]
	global_load_dwordx2 v[10:11], v12, s[8:9] offset:16
	ds_read2_b32 v[12:13], v2 offset1:245
	ds_read2_b32 v[14:15], v3 offset0:10 offset1:255
	ds_read2_b32 v[16:17], v4 offset0:4 offset1:249
	ds_read_b32 v20, v2 offset:5880
	s_mov_b32 s14, 0xb9e0
	s_waitcnt lgkmcnt(3)
	v_lshrrev_b32_e32 v21, 16, v13
	s_mov_b32 s15, 0xb574
	s_mov_b32 s20, 0x7507508
	s_waitcnt vmcnt(0) lgkmcnt(0)
	s_barrier
	v_mul_f16_sdwa v22, v6, v21 dst_sel:DWORD dst_unused:UNUSED_PAD src0_sel:WORD_1 src1_sel:DWORD
	v_mul_f16_sdwa v23, v6, v13 dst_sel:DWORD dst_unused:UNUSED_PAD src0_sel:WORD_1 src1_sel:DWORD
	v_fma_f16 v13, v6, v13, -v22
	v_fma_f16 v6, v6, v21, v23
	v_lshrrev_b32_e32 v21, 16, v14
	v_mul_f16_sdwa v22, v7, v21 dst_sel:DWORD dst_unused:UNUSED_PAD src0_sel:WORD_1 src1_sel:DWORD
	v_fma_f16 v22, v7, v14, -v22
	v_mul_f16_sdwa v14, v7, v14 dst_sel:DWORD dst_unused:UNUSED_PAD src0_sel:WORD_1 src1_sel:DWORD
	v_fma_f16 v7, v7, v21, v14
	v_lshrrev_b32_e32 v14, 16, v15
	v_mul_f16_sdwa v21, v8, v14 dst_sel:DWORD dst_unused:UNUSED_PAD src0_sel:WORD_1 src1_sel:DWORD
	v_fma_f16 v21, v8, v15, -v21
	v_mul_f16_sdwa v15, v8, v15 dst_sel:DWORD dst_unused:UNUSED_PAD src0_sel:WORD_1 src1_sel:DWORD
	;; [unrolled: 5-line block ×5, first 2 shown]
	v_fma_f16 v11, v11, v14, v20
	v_add_f16_e32 v14, v13, v17
	v_add_f16_e32 v20, v6, v11
	v_sub_f16_e32 v13, v13, v17
	v_sub_f16_e32 v6, v6, v11
	v_add_f16_e32 v11, v22, v16
	v_add_f16_e32 v17, v7, v10
	v_sub_f16_e32 v16, v22, v16
	v_sub_f16_e32 v7, v7, v10
	;; [unrolled: 4-line block ×3, first 2 shown]
	v_add_f16_e32 v9, v11, v14
	v_add_f16_e32 v21, v17, v20
	;; [unrolled: 1-line block ×5, first 2 shown]
	v_sub_f16_e32 v23, v11, v14
	v_sub_f16_e32 v14, v14, v10
	;; [unrolled: 1-line block ×3, first 2 shown]
	v_add_f16_e32 v26, v8, v7
	v_sub_f16_e32 v10, v15, v16
	v_sub_f16_e32 v15, v13, v15
	;; [unrolled: 1-line block ×3, first 2 shown]
	v_add_f16_e32 v13, v25, v13
	v_add_f16_e32 v25, v9, v12
	v_add_f16_sdwa v12, v21, v12 dst_sel:DWORD dst_unused:UNUSED_PAD src0_sel:DWORD src1_sel:WORD_1
	v_sub_f16_e32 v24, v17, v20
	v_sub_f16_e32 v20, v20, v22
	;; [unrolled: 1-line block ×6, first 2 shown]
	v_add_f16_e32 v6, v26, v6
	v_lshlrev_b32_e32 v26, 16, v12
	v_mul_f16_e32 v14, 0x3a52, v14
	v_mul_f16_e32 v27, 0x2b26, v11
	v_or_b32_e32 v26, v26, v25
	v_mul_f16_e32 v20, 0x3a52, v20
	v_fma_f16 v9, v9, s12, v25
	v_mul_f16_e32 v25, 0x2b26, v17
	v_mul_f16_e32 v10, 0xb846, v10
	;; [unrolled: 1-line block ×3, first 2 shown]
	v_fma_f16 v12, v21, s12, v12
	v_mul_f16_e32 v21, 0x3b00, v16
	v_fma_f16 v11, v11, s13, v14
	v_fma_f16 v27, v23, s6, -v27
	v_fma_f16 v14, v23, s14, -v14
	v_mul_f16_e32 v23, 0x3b00, v7
	v_fma_f16 v17, v17, s13, v20
	v_fma_f16 v25, v24, s6, -v25
	v_fma_f16 v20, v24, s14, -v20
	v_fma_f16 v24, v15, s11, v10
	v_fma_f16 v10, v16, s7, -v10
	v_fma_f16 v16, v8, s11, v22
	v_fma_f16 v7, v7, s7, -v22
	v_fma_f16 v15, v15, s15, -v21
	;; [unrolled: 1-line block ×3, first 2 shown]
	v_add_f16_e32 v11, v11, v9
	v_add_f16_e32 v17, v17, v12
	v_add_f16_e32 v21, v27, v9
	v_add_f16_e32 v22, v25, v12
	v_add_f16_e32 v9, v14, v9
	v_add_f16_e32 v12, v20, v12
	v_fma_f16 v14, v13, s10, v24
	v_fma_f16 v16, v6, s10, v16
	v_fma_f16 v10, v13, s10, v10
	v_fma_f16 v7, v6, s10, v7
	v_fma_f16 v13, v13, s10, v15
	v_fma_f16 v6, v6, s10, v8
	v_add_f16_e32 v20, v6, v9
	v_sub_f16_e32 v23, v12, v13
	v_sub_f16_e32 v6, v9, v6
	v_add_f16_e32 v9, v13, v12
	v_mul_hi_u32 v13, v0, s20
	v_sub_f16_e32 v24, v21, v7
	v_add_f16_e32 v25, v10, v22
	v_add_f16_e32 v7, v7, v21
	v_mad_u32_u24 v13, v13, 49, v19
	v_sub_f16_e32 v10, v22, v10
	v_mul_i32_i24_e32 v13, 20, v13
	v_add_f16_e32 v8, v16, v11
	v_sub_f16_e32 v11, v11, v16
	v_add_f16_e32 v12, v14, v17
	v_add3_u32 v13, 0, v13, v18
	v_pack_b32_f16 v7, v7, v10
	v_pack_b32_f16 v6, v6, v9
	ds_write2_b32 v13, v7, v6 offset0:140 offset1:175
	v_pack_b32_f16 v6, v11, v12
	v_sub_f16_e32 v15, v17, v14
	ds_write_b32 v13, v6 offset:840
	v_add_u32_e32 v6, s19, v1
	v_pack_b32_f16 v8, v8, v15
	v_cmp_gt_u32_e32 vcc, s33, v6
	ds_write2_b32 v13, v26, v8 offset1:35
	v_pack_b32_f16 v8, v20, v23
	v_pack_b32_f16 v14, v24, v25
	s_or_b64 s[4:5], s[4:5], vcc
	ds_write2_b32 v13, v8, v14 offset0:70 offset1:105
	s_waitcnt lgkmcnt(0)
	s_barrier
	s_and_saveexec_b64 s[20:21], s[4:5]
	s_cbranch_execz .LBB0_17
; %bb.16:
	s_mov_b32 s4, 0x539782a
	v_mul_hi_u32 v6, v5, s4
	s_mul_i32 s1, s1, s27
	s_mul_hi_u32 s4, s0, s27
	s_add_i32 s1, s4, s1
	v_mul_u32_u24_e32 v6, 49, v6
	v_sub_u32_e32 v15, v5, v6
	v_mul_u32_u24_e32 v5, 6, v15
	v_lshlrev_b32_e32 v11, 2, v5
	global_load_dwordx4 v[5:8], v11, s[8:9] offset:168
	global_load_dwordx2 v[9:10], v11, s[8:9] offset:184
	ds_read2_b32 v[11:12], v4 offset0:4 offset1:249
	ds_read2_b32 v[3:4], v3 offset0:10 offset1:255
	ds_read2_b32 v[13:14], v2 offset1:245
	ds_read_b32 v2, v2 offset:5880
	s_mul_i32 s0, s0, s27
	s_waitcnt lgkmcnt(3)
	v_lshrrev_b32_e32 v16, 16, v11
	s_waitcnt lgkmcnt(2)
	v_lshrrev_b32_e32 v17, 16, v4
	v_lshrrev_b32_e32 v18, 16, v3
	v_lshrrev_b32_e32 v19, 16, v12
	s_waitcnt lgkmcnt(0)
	v_lshrrev_b32_e32 v21, 16, v2
	v_lshrrev_b32_e32 v20, 16, v14
	s_lshl_b64 s[0:1], s[0:1], 2
	s_waitcnt vmcnt(1)
	v_mul_f16_sdwa v22, v8, v16 dst_sel:DWORD dst_unused:UNUSED_PAD src0_sel:WORD_1 src1_sel:DWORD
	v_mul_f16_sdwa v23, v7, v17 dst_sel:DWORD dst_unused:UNUSED_PAD src0_sel:WORD_1 src1_sel:DWORD
	;; [unrolled: 1-line block ×3, first 2 shown]
	s_waitcnt vmcnt(0)
	v_mul_f16_sdwa v25, v9, v19 dst_sel:DWORD dst_unused:UNUSED_PAD src0_sel:WORD_1 src1_sel:DWORD
	v_mul_f16_sdwa v27, v7, v4 dst_sel:DWORD dst_unused:UNUSED_PAD src0_sel:WORD_1 src1_sel:DWORD
	v_fma_f16 v4, v7, v4, -v23
	v_fma_f16 v23, v6, v3, -v24
	v_mul_f16_sdwa v24, v8, v11 dst_sel:DWORD dst_unused:UNUSED_PAD src0_sel:WORD_1 src1_sel:DWORD
	v_fma_f16 v11, v8, v11, -v22
	v_fma_f16 v22, v9, v12, -v25
	v_mul_f16_sdwa v25, v10, v21 dst_sel:DWORD dst_unused:UNUSED_PAD src0_sel:WORD_1 src1_sel:DWORD
	v_mul_f16_sdwa v26, v5, v20 dst_sel:DWORD dst_unused:UNUSED_PAD src0_sel:WORD_1 src1_sel:DWORD
	;; [unrolled: 1-line block ×4, first 2 shown]
	v_fma_f16 v7, v7, v17, v27
	v_mul_f16_sdwa v17, v5, v14 dst_sel:DWORD dst_unused:UNUSED_PAD src0_sel:WORD_1 src1_sel:DWORD
	v_fma_f16 v25, v10, v2, -v25
	v_mul_f16_sdwa v2, v10, v2 dst_sel:DWORD dst_unused:UNUSED_PAD src0_sel:WORD_1 src1_sel:DWORD
	v_fma_f16 v14, v5, v14, -v26
	v_fma_f16 v8, v8, v16, v24
	v_fma_f16 v3, v6, v18, v3
	;; [unrolled: 1-line block ×5, first 2 shown]
	v_sub_f16_e32 v9, v11, v4
	v_sub_f16_e32 v12, v14, v25
	v_add_f16_e32 v16, v7, v8
	v_add_f16_e32 v17, v3, v6
	;; [unrolled: 1-line block ×6, first 2 shown]
	v_sub_f16_e32 v7, v8, v7
	v_sub_f16_e32 v3, v3, v6
	;; [unrolled: 1-line block ×4, first 2 shown]
	v_add_f16_e32 v20, v17, v18
	v_add_f16_e32 v23, v11, v14
	;; [unrolled: 1-line block ×4, first 2 shown]
	v_sub_f16_e32 v6, v9, v10
	v_sub_f16_e32 v8, v12, v9
	;; [unrolled: 1-line block ×9, first 2 shown]
	v_add_f16_e32 v16, v16, v20
	v_add_f16_e32 v4, v4, v23
	;; [unrolled: 1-line block ×3, first 2 shown]
	v_sub_f16_e32 v2, v3, v2
	v_sub_f16_e32 v17, v17, v18
	;; [unrolled: 1-line block ×3, first 2 shown]
	v_add_f16_e32 v5, v5, v12
	v_mul_f16_e32 v6, 0xb846, v6
	v_mul_f16_e32 v12, 0x2b26, v9
	;; [unrolled: 1-line block ×7, first 2 shown]
	v_add_f16_sdwa v25, v16, v13 dst_sel:DWORD dst_unused:UNUSED_PAD src0_sel:DWORD src1_sel:WORD_1
	v_add_f16_e32 v13, v4, v13
	v_mul_f16_e32 v3, 0x3b00, v2
	v_fma_f16 v24, v8, s11, v6
	v_fma_f16 v21, v21, s13, v19
	v_fma_f16 v8, v8, s15, -v23
	v_fma_f16 v16, v16, s12, v25
	v_fma_f16 v4, v4, s12, v13
	v_fma_f16 v3, v7, s15, -v3
	v_fma_f16 v19, v11, s14, -v19
	;; [unrolled: 1-line block ×6, first 2 shown]
	v_fma_f16 v23, v5, s10, v24
	v_add_f16_e32 v21, v21, v4
	v_fma_f16 v8, v5, s10, v8
	v_add_f16_e32 v19, v19, v4
	;; [unrolled: 2-line block ×3, first 2 shown]
	v_fma_f16 v5, v5, s10, v6
	v_fma_f16 v2, v20, s10, v2
	v_add_f16_e32 v4, v10, v4
	v_fma_f16 v9, v9, s13, v14
	v_fma_f16 v14, v17, s14, -v14
	v_sub_f16_e32 v17, v19, v3
	v_sub_f16_e32 v6, v12, v5
	v_add_f16_e32 v10, v2, v4
	v_add_f16_e32 v5, v5, v12
	v_sub_f16_e32 v11, v4, v2
	v_add_f16_e32 v12, v3, v19
	v_mad_u64_u32 v[2:3], s[4:5], s16, v1, 0
	v_add_f16_e32 v9, v9, v16
	v_add_f16_e32 v14, v14, v16
	v_mad_u64_u32 v[3:4], s[4:5], s17, v1, v[3:4]
	s_mov_b32 s4, 0x10b7e6f
	v_mul_hi_u32 v0, v0, s4
	s_movk_i32 s4, 0x157
	v_lshlrev_b64 v[2:3], 2, v[2:3]
	v_lshlrev_b32_e32 v16, 16, v25
	v_mad_u32_u24 v0, v0, s4, v15
	s_add_u32 s4, s22, s0
	v_mul_lo_u32 v0, v0, s18
	s_addc_u32 s5, s23, s1
	s_lshl_b64 s[0:1], s[2:3], 2
	s_add_u32 s0, s4, s0
	s_addc_u32 s1, s5, s1
	v_or_b32_e32 v4, v16, v13
	v_mov_b32_e32 v1, 0
	v_mov_b32_e32 v13, s1
	v_add_co_u32_e32 v15, vcc, s0, v2
	v_addc_co_u32_e32 v13, vcc, v13, v3, vcc
	v_lshlrev_b64 v[2:3], 2, v[0:1]
	s_mul_i32 s0, s18, 49
	v_add_co_u32_e32 v2, vcc, v15, v2
	v_addc_co_u32_e32 v3, vcc, v13, v3, vcc
	v_add_u32_e32 v0, s0, v0
	v_fma_f16 v26, v7, s11, v22
	global_store_dword v[2:3], v4, off
	v_lshlrev_b64 v[2:3], 2, v[0:1]
	v_fma_f16 v24, v20, s10, v26
	v_add_f16_e32 v26, v23, v9
	v_add_f16_e32 v7, v8, v14
	v_sub_f16_e32 v8, v14, v8
	v_sub_f16_e32 v9, v9, v23
	v_add_f16_e32 v14, v24, v21
	v_add_co_u32_e32 v2, vcc, v15, v2
	v_addc_co_u32_e32 v3, vcc, v13, v3, vcc
	v_pack_b32_f16 v4, v14, v9
	v_add_u32_e32 v0, s0, v0
	global_store_dword v[2:3], v4, off
	v_lshlrev_b64 v[2:3], 2, v[0:1]
	v_pack_b32_f16 v4, v12, v8
	v_add_co_u32_e32 v2, vcc, v15, v2
	v_addc_co_u32_e32 v3, vcc, v13, v3, vcc
	v_add_u32_e32 v0, s0, v0
	global_store_dword v[2:3], v4, off
	v_lshlrev_b64 v[2:3], 2, v[0:1]
	v_pack_b32_f16 v4, v11, v5
	v_add_co_u32_e32 v2, vcc, v15, v2
	v_addc_co_u32_e32 v3, vcc, v13, v3, vcc
	;; [unrolled: 6-line block ×3, first 2 shown]
	v_add_u32_e32 v0, s0, v0
	global_store_dword v[2:3], v4, off
	v_lshlrev_b64 v[2:3], 2, v[0:1]
	v_add_u32_e32 v0, s0, v0
	v_add_co_u32_e32 v2, vcc, v15, v2
	v_lshlrev_b64 v[0:1], 2, v[0:1]
	v_addc_co_u32_e32 v3, vcc, v13, v3, vcc
	v_sub_f16_e32 v27, v21, v24
	v_pack_b32_f16 v4, v17, v7
	v_add_co_u32_e32 v0, vcc, v15, v0
	global_store_dword v[2:3], v4, off
	v_addc_co_u32_e32 v1, vcc, v13, v1, vcc
	v_pack_b32_f16 v2, v27, v26
	global_store_dword v[0:1], v2, off
.LBB0_17:
	s_endpgm
	.section	.rodata,"a",@progbits
	.p2align	6, 0x0
	.amdhsa_kernel fft_rtc_fwd_len343_factors_7_7_7_wgs_245_tpt_49_half_op_CI_CI_sbrc_unaligned_dirReg
		.amdhsa_group_segment_fixed_size 0
		.amdhsa_private_segment_fixed_size 0
		.amdhsa_kernarg_size 104
		.amdhsa_user_sgpr_count 6
		.amdhsa_user_sgpr_private_segment_buffer 1
		.amdhsa_user_sgpr_dispatch_ptr 0
		.amdhsa_user_sgpr_queue_ptr 0
		.amdhsa_user_sgpr_kernarg_segment_ptr 1
		.amdhsa_user_sgpr_dispatch_id 0
		.amdhsa_user_sgpr_flat_scratch_init 0
		.amdhsa_user_sgpr_private_segment_size 0
		.amdhsa_uses_dynamic_stack 0
		.amdhsa_system_sgpr_private_segment_wavefront_offset 0
		.amdhsa_system_sgpr_workgroup_id_x 1
		.amdhsa_system_sgpr_workgroup_id_y 0
		.amdhsa_system_sgpr_workgroup_id_z 0
		.amdhsa_system_sgpr_workgroup_info 0
		.amdhsa_system_vgpr_workitem_id 0
		.amdhsa_next_free_vgpr 30
		.amdhsa_next_free_sgpr 45
		.amdhsa_reserve_vcc 1
		.amdhsa_reserve_flat_scratch 0
		.amdhsa_float_round_mode_32 0
		.amdhsa_float_round_mode_16_64 0
		.amdhsa_float_denorm_mode_32 3
		.amdhsa_float_denorm_mode_16_64 3
		.amdhsa_dx10_clamp 1
		.amdhsa_ieee_mode 1
		.amdhsa_fp16_overflow 0
		.amdhsa_exception_fp_ieee_invalid_op 0
		.amdhsa_exception_fp_denorm_src 0
		.amdhsa_exception_fp_ieee_div_zero 0
		.amdhsa_exception_fp_ieee_overflow 0
		.amdhsa_exception_fp_ieee_underflow 0
		.amdhsa_exception_fp_ieee_inexact 0
		.amdhsa_exception_int_div_zero 0
	.end_amdhsa_kernel
	.text
.Lfunc_end0:
	.size	fft_rtc_fwd_len343_factors_7_7_7_wgs_245_tpt_49_half_op_CI_CI_sbrc_unaligned_dirReg, .Lfunc_end0-fft_rtc_fwd_len343_factors_7_7_7_wgs_245_tpt_49_half_op_CI_CI_sbrc_unaligned_dirReg
                                        ; -- End function
	.section	.AMDGPU.csdata,"",@progbits
; Kernel info:
; codeLenInByte = 4876
; NumSgprs: 49
; NumVgprs: 30
; ScratchSize: 0
; MemoryBound: 0
; FloatMode: 240
; IeeeMode: 1
; LDSByteSize: 0 bytes/workgroup (compile time only)
; SGPRBlocks: 6
; VGPRBlocks: 7
; NumSGPRsForWavesPerEU: 49
; NumVGPRsForWavesPerEU: 30
; Occupancy: 8
; WaveLimiterHint : 1
; COMPUTE_PGM_RSRC2:SCRATCH_EN: 0
; COMPUTE_PGM_RSRC2:USER_SGPR: 6
; COMPUTE_PGM_RSRC2:TRAP_HANDLER: 0
; COMPUTE_PGM_RSRC2:TGID_X_EN: 1
; COMPUTE_PGM_RSRC2:TGID_Y_EN: 0
; COMPUTE_PGM_RSRC2:TGID_Z_EN: 0
; COMPUTE_PGM_RSRC2:TIDIG_COMP_CNT: 0
	.type	__hip_cuid_176228a3dac02928,@object ; @__hip_cuid_176228a3dac02928
	.section	.bss,"aw",@nobits
	.globl	__hip_cuid_176228a3dac02928
__hip_cuid_176228a3dac02928:
	.byte	0                               ; 0x0
	.size	__hip_cuid_176228a3dac02928, 1

	.ident	"AMD clang version 19.0.0git (https://github.com/RadeonOpenCompute/llvm-project roc-6.4.0 25133 c7fe45cf4b819c5991fe208aaa96edf142730f1d)"
	.section	".note.GNU-stack","",@progbits
	.addrsig
	.addrsig_sym __hip_cuid_176228a3dac02928
	.amdgpu_metadata
---
amdhsa.kernels:
  - .args:
      - .actual_access:  read_only
        .address_space:  global
        .offset:         0
        .size:           8
        .value_kind:     global_buffer
      - .offset:         8
        .size:           8
        .value_kind:     by_value
      - .actual_access:  read_only
        .address_space:  global
        .offset:         16
        .size:           8
        .value_kind:     global_buffer
      - .actual_access:  read_only
        .address_space:  global
        .offset:         24
        .size:           8
        .value_kind:     global_buffer
      - .actual_access:  read_only
        .address_space:  global
        .offset:         32
        .size:           8
        .value_kind:     global_buffer
      - .offset:         40
        .size:           8
        .value_kind:     by_value
      - .actual_access:  read_only
        .address_space:  global
        .offset:         48
        .size:           8
        .value_kind:     global_buffer
      - .actual_access:  read_only
        .address_space:  global
        .offset:         56
        .size:           8
        .value_kind:     global_buffer
      - .offset:         64
        .size:           4
        .value_kind:     by_value
      - .actual_access:  read_only
        .address_space:  global
        .offset:         72
        .size:           8
        .value_kind:     global_buffer
      - .actual_access:  read_only
        .address_space:  global
        .offset:         80
        .size:           8
        .value_kind:     global_buffer
      - .actual_access:  read_only
        .address_space:  global
        .offset:         88
        .size:           8
        .value_kind:     global_buffer
      - .actual_access:  write_only
        .address_space:  global
        .offset:         96
        .size:           8
        .value_kind:     global_buffer
    .group_segment_fixed_size: 0
    .kernarg_segment_align: 8
    .kernarg_segment_size: 104
    .language:       OpenCL C
    .language_version:
      - 2
      - 0
    .max_flat_workgroup_size: 245
    .name:           fft_rtc_fwd_len343_factors_7_7_7_wgs_245_tpt_49_half_op_CI_CI_sbrc_unaligned_dirReg
    .private_segment_fixed_size: 0
    .sgpr_count:     49
    .sgpr_spill_count: 0
    .symbol:         fft_rtc_fwd_len343_factors_7_7_7_wgs_245_tpt_49_half_op_CI_CI_sbrc_unaligned_dirReg.kd
    .uniform_work_group_size: 1
    .uses_dynamic_stack: false
    .vgpr_count:     30
    .vgpr_spill_count: 0
    .wavefront_size: 64
amdhsa.target:   amdgcn-amd-amdhsa--gfx906
amdhsa.version:
  - 1
  - 2
...

	.end_amdgpu_metadata
